;; amdgpu-corpus repo=ROCm/rocFFT kind=compiled arch=gfx950 opt=O3
	.text
	.amdgcn_target "amdgcn-amd-amdhsa--gfx950"
	.amdhsa_code_object_version 6
	.protected	fft_rtc_fwd_len162_factors_6_3_3_3_wgs_243_tpt_27_halfLds_sp_op_CI_CI_unitstride_sbrr_dirReg ; -- Begin function fft_rtc_fwd_len162_factors_6_3_3_3_wgs_243_tpt_27_halfLds_sp_op_CI_CI_unitstride_sbrr_dirReg
	.globl	fft_rtc_fwd_len162_factors_6_3_3_3_wgs_243_tpt_27_halfLds_sp_op_CI_CI_unitstride_sbrr_dirReg
	.p2align	8
	.type	fft_rtc_fwd_len162_factors_6_3_3_3_wgs_243_tpt_27_halfLds_sp_op_CI_CI_unitstride_sbrr_dirReg,@function
fft_rtc_fwd_len162_factors_6_3_3_3_wgs_243_tpt_27_halfLds_sp_op_CI_CI_unitstride_sbrr_dirReg: ; @fft_rtc_fwd_len162_factors_6_3_3_3_wgs_243_tpt_27_halfLds_sp_op_CI_CI_unitstride_sbrr_dirReg
; %bb.0:
	s_load_dwordx4 s[4:7], s[0:1], 0x58
	s_load_dwordx4 s[8:11], s[0:1], 0x0
	;; [unrolled: 1-line block ×3, first 2 shown]
	v_mul_u32_u24_e32 v1, 0x97c, v0
	v_lshrrev_b32_e32 v2, 16, v1
	v_mad_u64_u32 v[6:7], s[2:3], s2, 9, v[2:3]
	v_mov_b32_e32 v10, 0
	v_mov_b32_e32 v7, v10
	s_waitcnt lgkmcnt(0)
	v_cmp_lt_u64_e64 s[2:3], s[10:11], 2
	v_mov_b64_e32 v[8:9], 0
	s_and_b64 vcc, exec, s[2:3]
	v_mov_b64_e32 v[2:3], v[8:9]
	v_mov_b64_e32 v[4:5], v[6:7]
	s_cbranch_vccnz .LBB0_8
; %bb.1:
	s_load_dwordx2 s[2:3], s[0:1], 0x10
	s_add_u32 s16, s14, 8
	s_addc_u32 s17, s15, 0
	s_add_u32 s18, s12, 8
	s_addc_u32 s19, s13, 0
	s_waitcnt lgkmcnt(0)
	s_add_u32 s20, s2, 8
	v_mov_b64_e32 v[8:9], 0
	s_addc_u32 s21, s3, 0
	s_mov_b64 s[22:23], 1
	v_mov_b64_e32 v[2:3], v[8:9]
	v_mov_b64_e32 v[12:13], v[6:7]
.LBB0_2:                                ; =>This Inner Loop Header: Depth=1
	s_load_dwordx2 s[24:25], s[20:21], 0x0
                                        ; implicit-def: $vgpr4_vgpr5
	s_waitcnt lgkmcnt(0)
	v_or_b32_e32 v11, s25, v13
	v_cmp_ne_u64_e32 vcc, 0, v[10:11]
	s_and_saveexec_b64 s[2:3], vcc
	s_xor_b64 s[26:27], exec, s[2:3]
	s_cbranch_execz .LBB0_4
; %bb.3:                                ;   in Loop: Header=BB0_2 Depth=1
	v_cvt_f32_u32_e32 v1, s24
	v_cvt_f32_u32_e32 v4, s25
	s_sub_u32 s2, 0, s24
	s_subb_u32 s3, 0, s25
	v_fmac_f32_e32 v1, 0x4f800000, v4
	v_rcp_f32_e32 v1, v1
	s_nop 0
	v_mul_f32_e32 v1, 0x5f7ffffc, v1
	v_mul_f32_e32 v4, 0x2f800000, v1
	v_trunc_f32_e32 v4, v4
	v_fmac_f32_e32 v1, 0xcf800000, v4
	v_cvt_u32_f32_e32 v7, v4
	v_cvt_u32_f32_e32 v1, v1
	v_mul_lo_u32 v4, s2, v7
	v_mul_hi_u32 v11, s2, v1
	v_mul_lo_u32 v5, s3, v1
	v_add_u32_e32 v11, v11, v4
	v_mul_lo_u32 v16, s2, v1
	v_add_u32_e32 v11, v11, v5
	v_mul_hi_u32 v4, v1, v16
	v_mul_hi_u32 v15, v1, v11
	v_mul_lo_u32 v14, v1, v11
	v_mov_b32_e32 v5, v10
	v_lshl_add_u64 v[4:5], v[4:5], 0, v[14:15]
	v_mul_hi_u32 v15, v7, v16
	v_mul_lo_u32 v16, v7, v16
	v_add_co_u32_e32 v4, vcc, v4, v16
	v_mul_hi_u32 v14, v7, v11
	s_nop 0
	v_addc_co_u32_e32 v4, vcc, v5, v15, vcc
	v_mov_b32_e32 v5, v10
	s_nop 0
	v_addc_co_u32_e32 v15, vcc, 0, v14, vcc
	v_mul_lo_u32 v14, v7, v11
	v_lshl_add_u64 v[4:5], v[4:5], 0, v[14:15]
	v_add_co_u32_e32 v1, vcc, v1, v4
	v_mul_lo_u32 v14, s2, v1
	s_nop 0
	v_addc_co_u32_e32 v7, vcc, v7, v5, vcc
	v_mul_lo_u32 v4, s2, v7
	v_mul_hi_u32 v5, s2, v1
	v_add_u32_e32 v4, v5, v4
	v_mul_lo_u32 v5, s3, v1
	v_add_u32_e32 v11, v4, v5
	v_mul_hi_u32 v17, v7, v14
	v_mul_lo_u32 v18, v7, v14
	v_mul_hi_u32 v5, v1, v11
	v_mul_lo_u32 v4, v1, v11
	v_mul_hi_u32 v14, v1, v14
	v_mov_b32_e32 v15, v10
	v_lshl_add_u64 v[4:5], v[14:15], 0, v[4:5]
	v_add_co_u32_e32 v4, vcc, v4, v18
	v_mul_hi_u32 v16, v7, v11
	s_nop 0
	v_addc_co_u32_e32 v4, vcc, v5, v17, vcc
	v_mul_lo_u32 v14, v7, v11
	s_nop 0
	v_addc_co_u32_e32 v15, vcc, 0, v16, vcc
	v_mov_b32_e32 v5, v10
	v_lshl_add_u64 v[4:5], v[4:5], 0, v[14:15]
	v_add_co_u32_e32 v1, vcc, v1, v4
	v_mul_hi_u32 v14, v12, v1
	s_nop 0
	v_addc_co_u32_e32 v7, vcc, v7, v5, vcc
	v_mad_u64_u32 v[4:5], s[2:3], v12, v7, 0
	v_mov_b32_e32 v15, v10
	v_lshl_add_u64 v[4:5], v[14:15], 0, v[4:5]
	v_mad_u64_u32 v[16:17], s[2:3], v13, v1, 0
	v_add_co_u32_e32 v1, vcc, v4, v16
	v_mad_u64_u32 v[14:15], s[2:3], v13, v7, 0
	s_nop 0
	v_addc_co_u32_e32 v4, vcc, v5, v17, vcc
	v_mov_b32_e32 v5, v10
	s_nop 0
	v_addc_co_u32_e32 v15, vcc, 0, v15, vcc
	v_lshl_add_u64 v[4:5], v[4:5], 0, v[14:15]
	v_mul_lo_u32 v1, s25, v4
	v_mul_lo_u32 v7, s24, v5
	v_mad_u64_u32 v[14:15], s[2:3], s24, v4, 0
	v_add3_u32 v1, v15, v7, v1
	v_sub_u32_e32 v7, v13, v1
	v_mov_b32_e32 v11, s25
	v_sub_co_u32_e32 v18, vcc, v12, v14
	v_lshl_add_u64 v[16:17], v[4:5], 0, 1
	s_nop 0
	v_subb_co_u32_e64 v7, s[2:3], v7, v11, vcc
	v_subrev_co_u32_e64 v11, s[2:3], s24, v18
	v_subb_co_u32_e32 v1, vcc, v13, v1, vcc
	s_nop 0
	v_subbrev_co_u32_e64 v7, s[2:3], 0, v7, s[2:3]
	v_cmp_le_u32_e64 s[2:3], s25, v7
	v_cmp_le_u32_e32 vcc, s25, v1
	s_nop 0
	v_cndmask_b32_e64 v14, 0, -1, s[2:3]
	v_cmp_le_u32_e64 s[2:3], s24, v11
	s_nop 1
	v_cndmask_b32_e64 v11, 0, -1, s[2:3]
	v_cmp_eq_u32_e64 s[2:3], s25, v7
	s_nop 1
	v_cndmask_b32_e64 v7, v14, v11, s[2:3]
	v_lshl_add_u64 v[14:15], v[4:5], 0, 2
	v_cmp_ne_u32_e64 s[2:3], 0, v7
	v_cndmask_b32_e64 v11, 0, -1, vcc
	v_cmp_le_u32_e32 vcc, s24, v18
	v_cndmask_b32_e64 v7, v17, v15, s[2:3]
	s_nop 0
	v_cndmask_b32_e64 v15, 0, -1, vcc
	v_cmp_eq_u32_e32 vcc, s25, v1
	s_nop 1
	v_cndmask_b32_e32 v1, v11, v15, vcc
	v_cmp_ne_u32_e32 vcc, 0, v1
	v_cndmask_b32_e64 v1, v16, v14, s[2:3]
	s_nop 0
	v_cndmask_b32_e32 v5, v5, v7, vcc
	v_cndmask_b32_e32 v4, v4, v1, vcc
.LBB0_4:                                ;   in Loop: Header=BB0_2 Depth=1
	s_andn2_saveexec_b64 s[2:3], s[26:27]
	s_cbranch_execz .LBB0_6
; %bb.5:                                ;   in Loop: Header=BB0_2 Depth=1
	v_cvt_f32_u32_e32 v1, s24
	s_sub_i32 s26, 0, s24
	v_rcp_iflag_f32_e32 v1, v1
	s_nop 0
	v_mul_f32_e32 v1, 0x4f7ffffe, v1
	v_cvt_u32_f32_e32 v1, v1
	v_mul_lo_u32 v4, s26, v1
	v_mul_hi_u32 v4, v1, v4
	v_add_u32_e32 v1, v1, v4
	v_mul_hi_u32 v1, v12, v1
	v_mul_lo_u32 v4, v1, s24
	v_sub_u32_e32 v4, v12, v4
	v_add_u32_e32 v5, 1, v1
	v_subrev_u32_e32 v7, s24, v4
	v_cmp_le_u32_e32 vcc, s24, v4
	s_nop 1
	v_cndmask_b32_e32 v4, v4, v7, vcc
	v_cndmask_b32_e32 v1, v1, v5, vcc
	v_add_u32_e32 v5, 1, v1
	v_cmp_le_u32_e32 vcc, s24, v4
	s_nop 1
	v_cndmask_b32_e32 v4, v1, v5, vcc
	v_mov_b32_e32 v5, v10
.LBB0_6:                                ;   in Loop: Header=BB0_2 Depth=1
	s_or_b64 exec, exec, s[2:3]
	v_mad_u64_u32 v[14:15], s[2:3], v4, s24, 0
	s_load_dwordx2 s[2:3], s[18:19], 0x0
	s_add_u32 s22, s22, 1
	v_mul_lo_u32 v1, v5, s24
	v_mul_lo_u32 v7, v4, s25
	s_load_dwordx2 s[24:25], s[16:17], 0x0
	s_addc_u32 s23, s23, 0
	v_add3_u32 v1, v15, v7, v1
	v_sub_co_u32_e32 v7, vcc, v12, v14
	s_add_u32 s16, s16, 8
	s_nop 0
	v_subb_co_u32_e32 v1, vcc, v13, v1, vcc
	s_addc_u32 s17, s17, 0
	s_waitcnt lgkmcnt(0)
	v_mul_lo_u32 v11, s2, v1
	v_mul_lo_u32 v12, s3, v7
	v_mad_u64_u32 v[8:9], s[2:3], s2, v7, v[8:9]
	s_add_u32 s18, s18, 8
	v_add3_u32 v9, v12, v9, v11
	s_addc_u32 s19, s19, 0
	v_mov_b64_e32 v[12:13], s[10:11]
	v_mul_lo_u32 v1, s24, v1
	v_mul_lo_u32 v11, s25, v7
	v_mad_u64_u32 v[2:3], s[2:3], s24, v7, v[2:3]
	s_add_u32 s20, s20, 8
	v_cmp_ge_u64_e32 vcc, s[22:23], v[12:13]
	v_add3_u32 v3, v11, v3, v1
	s_addc_u32 s21, s21, 0
	s_cbranch_vccnz .LBB0_8
; %bb.7:                                ;   in Loop: Header=BB0_2 Depth=1
	v_mov_b64_e32 v[12:13], v[4:5]
	s_branch .LBB0_2
.LBB0_8:
	s_load_dwordx2 s[0:1], s[0:1], 0x28
	s_lshl_b64 s[10:11], s[10:11], 3
	s_add_u32 s2, s14, s10
	s_addc_u32 s3, s15, s11
                                        ; implicit-def: $vgpr22
	s_waitcnt lgkmcnt(0)
	v_cmp_gt_u64_e32 vcc, s[0:1], v[4:5]
	v_cmp_le_u64_e64 s[0:1], s[0:1], v[4:5]
	s_and_saveexec_b64 s[14:15], s[0:1]
	s_xor_b64 s[0:1], exec, s[14:15]
; %bb.9:
	s_mov_b32 s14, 0x97b425f
	v_mul_hi_u32 v1, v0, s14
	v_mul_u32_u24_e32 v1, 27, v1
	v_sub_u32_e32 v22, v0, v1
                                        ; implicit-def: $vgpr0
                                        ; implicit-def: $vgpr8_vgpr9
; %bb.10:
	s_or_saveexec_b64 s[0:1], s[0:1]
                                        ; implicit-def: $vgpr14
                                        ; implicit-def: $vgpr1
                                        ; implicit-def: $vgpr16
                                        ; implicit-def: $vgpr18
                                        ; implicit-def: $vgpr12
                                        ; implicit-def: $vgpr10
                                        ; implicit-def: $vgpr20
	s_xor_b64 exec, exec, s[0:1]
	s_cbranch_execz .LBB0_12
; %bb.11:
	s_add_u32 s10, s12, s10
	s_addc_u32 s11, s13, s11
	s_load_dwordx2 s[10:11], s[10:11], 0x0
	s_mov_b32 s12, 0x97b425f
	s_waitcnt lgkmcnt(0)
	v_mul_lo_u32 v1, s11, v4
	v_mul_lo_u32 v7, s10, v5
	v_mad_u64_u32 v[10:11], s[10:11], s10, v4, 0
	v_add3_u32 v11, v11, v7, v1
	v_mul_hi_u32 v1, v0, s12
	v_mul_u32_u24_e32 v1, 27, v1
	v_sub_u32_e32 v22, v0, v1
	v_lshl_add_u64 v[0:1], v[10:11], 3, s[4:5]
	v_lshl_add_u64 v[0:1], v[8:9], 3, v[0:1]
	v_lshlrev_b32_e32 v8, 3, v22
	v_mov_b32_e32 v9, 0
	v_lshl_add_u64 v[0:1], v[0:1], 0, v[8:9]
	global_load_dwordx2 v[16:17], v[0:1], off
	global_load_dwordx2 v[14:15], v[0:1], off offset:648
	global_load_dwordx2 v[20:21], v[0:1], off offset:432
	;; [unrolled: 1-line block ×5, first 2 shown]
	s_waitcnt vmcnt(5)
	v_mov_b32_e32 v1, v16
	s_waitcnt vmcnt(4)
	v_mov_b32_e32 v16, v15
.LBB0_12:
	s_or_b64 exec, exec, s[0:1]
	s_mov_b32 s0, 0x38e38e39
	v_mul_hi_u32 v0, v6, s0
	v_lshrrev_b32_e32 v0, 1, v0
	v_lshl_add_u32 v0, v0, 3, v0
	s_waitcnt vmcnt(1)
	v_pk_add_f32 v[8:9], v[10:11], v[20:21]
	v_sub_u32_e32 v0, v6, v0
	v_add_f32_e32 v6, v20, v1
	v_fmac_f32_e32 v1, -0.5, v8
	v_pk_add_f32 v[24:25], v[20:21], v[10:11] neg_lo:[0,1] neg_hi:[0,1]
	v_pk_add_f32 v[28:29], v[20:21], v[16:17]
	v_mul_f32_e32 v23, 0x3f5db3d7, v25
	v_fmamk_f32 v26, v25, 0xbf5db3d7, v1
	v_mul_f32_e32 v25, 0.5, v9
	v_mul_f32_e32 v31, 0x3f5db3d7, v24
	v_mov_b32_e32 v24, v19
	v_pk_add_f32 v[24:25], v[16:17], v[24:25] neg_lo:[0,1] neg_hi:[0,1]
	s_waitcnt vmcnt(0)
	v_mov_b32_e32 v30, v13
	v_pk_add_f32 v[34:35], v[24:25], v[30:31] neg_lo:[0,1] neg_hi:[0,1]
	v_mov_b32_e32 v28, v31
	v_mov_b32_e32 v24, v25
	;; [unrolled: 1-line block ×4, first 2 shown]
	s_load_dwordx2 s[4:5], s[2:3], 0x0
	v_mul_u32_u24_e32 v7, 0xa2, v0
	s_mov_b32 s2, 0x3f5db3d7
	v_add_f32_e32 v0, v14, v18
	s_movk_i32 s3, 0xffec
	v_pk_add_f32 v[24:25], v[28:29], v[24:25]
	v_pk_add_f32 v[28:29], v[12:13], v[14:15]
	v_pk_add_f32 v[14:15], v[14:15], v[12:13] neg_lo:[0,1] neg_hi:[0,1]
	v_lshlrev_b32_e32 v21, 2, v7
	v_mov_b32_e32 v8, v19
	v_pk_fma_f32 v[18:19], -0.5, v[28:29], v[18:19] op_sel_hi:[0,1,1]
	v_pk_mul_f32 v[14:15], v[14:15], s[2:3] op_sel_hi:[1,0]
	s_mov_b32 s0, 0xbf5db3d7
	v_add_u32_e32 v7, 0, v21
	v_pk_add_f32 v[28:29], v[18:19], v[14:15] op_sel:[0,1] op_sel_hi:[1,0] neg_lo:[0,1] neg_hi:[0,1]
	v_pk_add_f32 v[14:15], v[14:15], v[18:19] op_sel:[1,0] op_sel_hi:[0,1]
	s_mov_b32 s1, 0.5
	v_mad_u32_u24 v36, v22, 24, v7
	v_lshl_add_u32 v9, v22, 2, v7
	v_mul_f32_e32 v7, 0.5, v14
	v_mul_f32_e32 v11, 0x3f5db3d7, v29
	v_mov_b32_e32 v13, v23
	v_mad_i32_i24 v20, v22, s3, v36
	v_mul_f32_e32 v18, -0.5, v28
	s_mov_b32 s3, s1
	v_pk_add_f32 v[0:1], v[12:13], v[0:1]
	v_pk_add_f32 v[6:7], v[10:11], v[6:7]
	v_pk_add_f32 v[32:33], v[16:17], v[8:9] op_sel_hi:[1,0]
	v_fmac_f32_e32 v18, 0x3f5db3d7, v15
	v_pk_mul_f32 v[14:15], v[14:15], s[2:3]
	v_mov_b32_e32 v27, v6
	v_mov_b32_e32 v19, v0
	v_pk_add_f32 v[32:33], v[32:33], v[30:31]
	v_pk_fma_f32 v[14:15], v[28:29], s[0:1], v[14:15] op_sel:[0,0,1] op_sel_hi:[1,1,0] neg_lo:[0,0,1] neg_hi:[0,0,1]
	v_pk_add_f32 v[10:11], v[0:1], v[6:7]
	v_mov_b32_e32 v28, v1
	v_pk_add_f32 v[30:31], v[26:27], v[18:19]
	v_pk_add_f32 v[0:1], v[6:7], v[0:1] op_sel:[1,1] op_sel_hi:[0,0] neg_lo:[0,1] neg_hi:[0,1]
	v_mov_b32_e32 v17, v32
	v_mov_b32_e32 v12, v7
	;; [unrolled: 1-line block ×6, first 2 shown]
	ds_write2_b64 v36, v[10:11], v[30:31] offset1:1
	v_pk_add_f32 v[0:1], v[28:29], v[12:13] neg_lo:[0,1] neg_hi:[0,1]
	v_mov_b32_e32 v10, v25
	v_mov_b32_e32 v11, v15
	v_pk_add_f32 v[12:13], v[24:25], v[14:15]
	v_pk_add_f32 v[16:17], v[24:25], v[16:17] neg_lo:[0,1] neg_hi:[0,1]
	v_mov_b32_e32 v25, v35
	v_pk_add_f32 v[10:11], v[32:33], v[10:11]
	v_pk_add_f32 v[14:15], v[24:25], v[14:15] neg_lo:[0,1] neg_hi:[0,1]
	v_mov_b32_e32 v13, v17
	ds_write_b64 v36, v[0:1] offset:16
	s_waitcnt lgkmcnt(0)
	s_barrier
	ds_read2_b32 v[0:1], v20 offset0:27 offset1:54
	ds_read2_b32 v[6:7], v20 offset0:81 offset1:108
	ds_read_b32 v8, v9
	ds_read_b32 v23, v20 offset:540
	s_waitcnt lgkmcnt(0)
	s_barrier
	ds_write2_b64 v36, v[10:11], v[12:13] offset1:1
	v_mov_b32_e32 v10, v15
	v_mov_b32_e32 v11, v14
	s_movk_i32 s0, 0xab
	ds_write_b64 v36, v[10:11] offset:16
	v_mul_lo_u16_sdwa v10, v22, s0 dst_sel:DWORD dst_unused:UNUSED_PAD src0_sel:BYTE_0 src1_sel:DWORD
	v_lshrrev_b16_e32 v12, 10, v10
	v_mul_lo_u16_e32 v10, 6, v12
	v_sub_u16_e32 v28, v22, v10
	v_mov_b32_e32 v29, 4
	v_lshlrev_b32_sdwa v10, v29, v28 dst_sel:DWORD dst_unused:UNUSED_PAD src0_sel:DWORD src1_sel:BYTE_0
	v_add_u32_e32 v13, 27, v22
	s_waitcnt lgkmcnt(0)
	s_barrier
	global_load_dwordx4 v[14:17], v10, s[8:9]
	v_mul_lo_u16_sdwa v10, v13, s0 dst_sel:DWORD dst_unused:UNUSED_PAD src0_sel:BYTE_0 src1_sel:DWORD
	v_lshrrev_b16_e32 v30, 10, v10
	v_mul_lo_u16_e32 v10, 6, v30
	v_sub_u16_e32 v31, v13, v10
	v_lshlrev_b32_sdwa v10, v29, v31 dst_sel:DWORD dst_unused:UNUSED_PAD src0_sel:DWORD src1_sel:BYTE_0
	global_load_dwordx4 v[24:27], v10, s[8:9]
	ds_read2_b32 v[10:11], v20 offset0:27 offset1:54
	ds_read2_b32 v[18:19], v20 offset0:81 offset1:108
	ds_read_b32 v32, v9
	ds_read_b32 v33, v20 offset:540
	s_movk_i32 s0, 0x48
	s_waitcnt lgkmcnt(0)
	s_barrier
	s_movk_i32 s10, 0xd8
	s_movk_i32 s3, 0xa2
	s_waitcnt vmcnt(1)
	v_mul_f32_e32 v34, v11, v15
	v_fma_f32 v34, v1, v14, -v34
	v_mul_f32_e32 v1, v1, v15
	v_fmac_f32_e32 v1, v11, v14
	v_mul_f32_e32 v11, v19, v17
	v_fma_f32 v11, v7, v16, -v11
	s_waitcnt vmcnt(0)
	v_mul_f32_e32 v14, v18, v25
	v_mul_f32_e32 v7, v7, v17
	v_fma_f32 v14, v6, v24, -v14
	v_mul_f32_e32 v6, v6, v25
	v_fmac_f32_e32 v7, v19, v16
	v_fmac_f32_e32 v6, v18, v24
	v_add_f32_e32 v18, v34, v11
	v_mul_f32_e32 v15, v33, v27
	v_add_f32_e32 v17, v8, v34
	v_fmac_f32_e32 v8, -0.5, v18
	v_sub_f32_e32 v18, v1, v7
	v_fma_f32 v15, v23, v26, -v15
	v_mul_f32_e32 v16, v23, v27
	v_fmamk_f32 v19, v18, 0x3f5db3d7, v8
	v_fmac_f32_e32 v8, 0xbf5db3d7, v18
	v_add_f32_e32 v18, v32, v1
	v_add_f32_e32 v1, v1, v7
	v_fmac_f32_e32 v16, v33, v26
	v_add_f32_e32 v23, v18, v7
	v_fmac_f32_e32 v32, -0.5, v1
	v_sub_f32_e32 v1, v34, v11
	v_add_f32_e32 v7, v14, v15
	v_add_f32_e32 v17, v17, v11
	v_fmamk_f32 v11, v1, 0xbf5db3d7, v32
	v_fmac_f32_e32 v32, 0x3f5db3d7, v1
	v_add_f32_e32 v1, v0, v14
	v_fmac_f32_e32 v0, -0.5, v7
	v_sub_f32_e32 v7, v6, v16
	v_fmamk_f32 v18, v7, 0x3f5db3d7, v0
	v_fmac_f32_e32 v0, 0xbf5db3d7, v7
	v_add_f32_e32 v7, v10, v6
	v_add_f32_e32 v6, v6, v16
	v_fmac_f32_e32 v10, -0.5, v6
	v_sub_f32_e32 v6, v14, v15
	v_fmamk_f32 v14, v6, 0xbf5db3d7, v10
	v_fmac_f32_e32 v10, 0x3f5db3d7, v6
	v_mad_u32_u24 v6, v12, s0, 0
	v_mov_b32_e32 v12, 2
	v_add_f32_e32 v24, v7, v16
	v_lshlrev_b32_sdwa v7, v12, v28 dst_sel:DWORD dst_unused:UNUSED_PAD src0_sel:DWORD src1_sel:BYTE_0
	v_add_f32_e32 v1, v1, v15
	v_add3_u32 v15, v6, v7, v21
	v_mad_u32_u24 v6, v30, s0, 0
	v_lshlrev_b32_sdwa v7, v12, v31 dst_sel:DWORD dst_unused:UNUSED_PAD src0_sel:DWORD src1_sel:BYTE_0
	ds_write2_b32 v15, v17, v19 offset1:6
	ds_write_b32 v15, v8 offset:48
	v_add3_u32 v8, v6, v7, v21
	ds_write2_b32 v8, v1, v18 offset1:6
	ds_write_b32 v8, v0 offset:48
	v_subrev_u32_e32 v0, 18, v22
	v_cmp_gt_u32_e64 s[0:1], 18, v22
	s_waitcnt lgkmcnt(0)
	s_barrier
	ds_read2_b32 v[6:7], v20 offset0:27 offset1:54
	ds_read2_b32 v[18:19], v20 offset0:81 offset1:108
	ds_read_b32 v30, v9
	ds_read_b32 v31, v20 offset:540
	s_waitcnt lgkmcnt(0)
	s_barrier
	ds_write2_b32 v15, v23, v11 offset1:6
	ds_write_b32 v15, v32 offset:48
	ds_write2_b32 v8, v24, v14 offset1:6
	ds_write_b32 v8, v10 offset:48
	v_cndmask_b32_e64 v8, v0, v22, s[0:1]
	v_lshlrev_b32_e32 v0, 1, v8
	v_mov_b32_e32 v1, 0
	v_lshl_add_u64 v[10:11], v[0:1], 3, s[8:9]
	v_mov_b32_e32 v0, 57
	v_mul_lo_u16_sdwa v0, v13, v0 dst_sel:DWORD dst_unused:UNUSED_PAD src0_sel:BYTE_0 src1_sel:DWORD
	s_waitcnt lgkmcnt(0)
	s_barrier
	global_load_dwordx4 v[14:17], v[10:11], off offset:96
	v_lshrrev_b16_e32 v0, 10, v0
	v_mul_lo_u16_e32 v10, 18, v0
	v_sub_u16_e32 v23, v13, v10
	v_lshlrev_b32_sdwa v10, v29, v23 dst_sel:DWORD dst_unused:UNUSED_PAD src0_sel:DWORD src1_sel:BYTE_0
	global_load_dwordx4 v[24:27], v10, s[8:9] offset:96
	ds_read2_b32 v[28:29], v20 offset0:27 offset1:54
	ds_read2_b32 v[10:11], v20 offset0:81 offset1:108
	ds_read_b32 v32, v9
	ds_read_b32 v33, v20 offset:540
	v_cmp_lt_u32_e64 s[0:1], 17, v22
	v_lshlrev_b32_e32 v8, 2, v8
	v_mad_u32_u24 v0, v0, s10, 0
	s_waitcnt lgkmcnt(0)
	s_barrier
	s_waitcnt vmcnt(1)
	v_mul_f32_e32 v34, v29, v15
	v_fma_f32 v34, v7, v14, -v34
	v_mul_f32_e32 v7, v7, v15
	v_fmac_f32_e32 v7, v29, v14
	v_mul_f32_e32 v14, v11, v17
	v_fma_f32 v14, v19, v16, -v14
	v_mul_f32_e32 v15, v19, v17
	v_fmac_f32_e32 v15, v11, v16
	s_waitcnt vmcnt(0)
	v_mul_f32_e32 v11, v10, v25
	v_mul_f32_e32 v16, v18, v25
	v_add_f32_e32 v19, v34, v14
	v_fma_f32 v11, v18, v24, -v11
	v_fmac_f32_e32 v16, v10, v24
	v_mul_f32_e32 v10, v33, v27
	v_add_f32_e32 v18, v30, v34
	v_fmac_f32_e32 v30, -0.5, v19
	v_sub_f32_e32 v19, v7, v15
	v_fma_f32 v10, v31, v26, -v10
	v_mul_f32_e32 v17, v31, v27
	v_fmamk_f32 v24, v19, 0x3f5db3d7, v30
	v_fmac_f32_e32 v30, 0xbf5db3d7, v19
	v_add_f32_e32 v19, v32, v7
	v_add_f32_e32 v7, v7, v15
	v_fmac_f32_e32 v17, v33, v26
	v_add_f32_e32 v19, v19, v15
	v_fmac_f32_e32 v32, -0.5, v7
	v_sub_f32_e32 v7, v34, v14
	v_add_f32_e32 v15, v11, v10
	v_add_f32_e32 v18, v18, v14
	v_fmamk_f32 v14, v7, 0xbf5db3d7, v32
	v_fmac_f32_e32 v32, 0x3f5db3d7, v7
	v_add_f32_e32 v7, v6, v11
	v_fmac_f32_e32 v6, -0.5, v15
	v_sub_f32_e32 v15, v16, v17
	v_fmamk_f32 v25, v15, 0x3f5db3d7, v6
	v_fmac_f32_e32 v6, 0xbf5db3d7, v15
	v_add_f32_e32 v15, v28, v16
	v_add_f32_e32 v16, v16, v17
	;; [unrolled: 1-line block ×3, first 2 shown]
	v_fmac_f32_e32 v28, -0.5, v16
	v_sub_f32_e32 v10, v11, v10
	v_fmamk_f32 v16, v10, 0xbf5db3d7, v28
	v_fmac_f32_e32 v28, 0x3f5db3d7, v10
	v_mov_b32_e32 v10, 0xd8
	v_cndmask_b32_e64 v10, 0, v10, s[0:1]
	v_add_u32_e32 v10, 0, v10
	v_add_f32_e32 v15, v15, v17
	v_add3_u32 v17, v10, v8, v21
	v_lshlrev_b32_sdwa v8, v12, v23 dst_sel:DWORD dst_unused:UNUSED_PAD src0_sel:DWORD src1_sel:BYTE_0
	v_add3_u32 v0, v0, v8, v21
	ds_write2_b32 v17, v18, v24 offset1:18
	ds_write_b32 v17, v30 offset:144
	ds_write2_b32 v0, v7, v25 offset1:18
	ds_write_b32 v0, v6 offset:144
	s_waitcnt lgkmcnt(0)
	s_barrier
	ds_read2_b32 v[6:7], v20 offset0:27 offset1:54
	ds_read2_b32 v[10:11], v20 offset0:81 offset1:108
	ds_read_b32 v8, v9
	ds_read_b32 v12, v20 offset:540
	s_waitcnt lgkmcnt(0)
	s_barrier
	ds_write2_b32 v17, v19, v14 offset1:18
	ds_write_b32 v17, v32 offset:144
	ds_write2_b32 v0, v15, v16 offset1:18
	ds_write_b32 v0, v28 offset:144
	s_waitcnt lgkmcnt(0)
	s_barrier
	s_and_saveexec_b64 s[0:1], vcc
	s_cbranch_execz .LBB0_14
; %bb.13:
	v_lshlrev_b32_e32 v0, 1, v13
	v_lshl_add_u64 v[18:19], v[0:1], 3, s[8:9]
	v_lshlrev_b32_e32 v0, 1, v22
	v_lshl_add_u64 v[28:29], v[0:1], 3, s[8:9]
	global_load_dwordx4 v[14:17], v[28:29], off offset:384
	global_load_dwordx4 v[24:27], v[18:19], off offset:384
	v_mul_lo_u32 v0, s5, v4
	v_mul_lo_u32 v13, s4, v5
	v_mad_u64_u32 v[4:5], s[0:1], s4, v4, 0
	v_mov_b32_e32 v30, v7
	v_mov_b32_e32 v32, v7
	v_add_u32_e32 v7, 27, v22
	v_lshrrev_b32_e32 v21, 1, v22
	s_mov_b32 s0, 0x4bda12f7
	v_mov_b32_e32 v34, v11
	v_mov_b32_e32 v36, v11
	v_add3_u32 v5, v5, v13, v0
	v_lshrrev_b32_e32 v11, 1, v7
	v_mul_hi_u32 v0, v21, s0
	v_lshl_add_u64 v[4:5], v[4:5], 3, s[6:7]
	v_mul_hi_u32 v11, v11, s0
	v_lshrrev_b32_e32 v0, 3, v0
	v_lshl_add_u64 v[2:3], v[2:3], 3, v[4:5]
	v_lshrrev_b32_e32 v5, 3, v11
	ds_read2_b32 v[18:19], v20 offset0:81 offset1:108
	ds_read2_b32 v[28:29], v20 offset0:27 offset1:54
	ds_read_b32 v20, v20 offset:540
	ds_read_b32 v9, v9
	v_mul_lo_u32 v0, v0, 54
	v_mul_lo_u32 v11, v5, 54
	v_sub_u32_e32 v0, v22, v0
	v_sub_u32_e32 v38, v7, v11
	v_lshlrev_b32_e32 v0, 3, v0
	v_mad_u64_u32 v[38:39], s[0:1], v5, s3, v[38:39]
	s_waitcnt lgkmcnt(2)
	v_mov_b32_e32 v4, v29
	v_mov_b32_e32 v7, v28
	v_lshl_add_u64 v[28:29], v[2:3], 0, v[0:1]
	v_add_u32_e32 v0, 54, v38
	v_mov_b32_e32 v22, v19
	v_mov_b32_e32 v39, v1
	v_lshl_add_u64 v[42:43], v[0:1], 3, v[2:3]
	v_add_u32_e32 v0, 0x6c, v38
	v_lshl_add_u64 v[40:41], v[38:39], 3, v[2:3]
	v_lshl_add_u64 v[0:1], v[0:1], 3, v[2:3]
	s_waitcnt vmcnt(1)
	v_pk_mul_f32 v[2:3], v[14:15], v[4:5] op_sel_hi:[1,0]
	v_pk_mul_f32 v[4:5], v[16:17], v[22:23] op_sel_hi:[1,0]
	s_waitcnt vmcnt(0)
	v_pk_mul_f32 v[18:19], v[24:25], v[18:19] op_sel_hi:[1,0]
	s_waitcnt lgkmcnt(1)
	v_pk_mul_f32 v[20:21], v[26:27], v[20:21] op_sel_hi:[1,0]
	v_pk_fma_f32 v[22:23], v[30:31], v[14:15], v[2:3] op_sel:[0,0,1] op_sel_hi:[1,1,0] neg_lo:[0,0,1] neg_hi:[0,0,1]
	v_pk_fma_f32 v[2:3], v[32:33], v[14:15], v[2:3] op_sel:[0,0,1] op_sel_hi:[0,1,0]
	v_pk_fma_f32 v[14:15], v[34:35], v[16:17], v[4:5] op_sel:[0,0,1] op_sel_hi:[1,1,0] neg_lo:[0,0,1] neg_hi:[0,0,1]
	v_pk_fma_f32 v[4:5], v[36:37], v[16:17], v[4:5] op_sel:[0,0,1] op_sel_hi:[0,1,0]
	;; [unrolled: 2-line block ×4, first 2 shown]
	v_mov_b32_e32 v23, v3
	v_mov_b32_e32 v15, v5
	v_mov_b32_e32 v17, v11
	v_mov_b32_e32 v19, v13
	s_waitcnt lgkmcnt(0)
	v_pk_add_f32 v[2:3], v[8:9], v[22:23]
	v_pk_add_f32 v[4:5], v[22:23], v[14:15]
	v_pk_add_f32 v[10:11], v[22:23], v[14:15] neg_lo:[0,1] neg_hi:[0,1]
	v_pk_add_f32 v[12:13], v[16:17], v[18:19]
	v_pk_add_f32 v[20:21], v[16:17], v[18:19] neg_lo:[0,1] neg_hi:[0,1]
	v_pk_add_f32 v[2:3], v[2:3], v[14:15]
	v_pk_fma_f32 v[4:5], v[4:5], 0.5, v[8:9] op_sel_hi:[1,0,1] neg_lo:[1,0,0] neg_hi:[1,0,0]
	v_pk_mul_f32 v[8:9], v[10:11], s[2:3] op_sel_hi:[1,0]
	v_pk_add_f32 v[16:17], v[6:7], v[16:17]
	v_pk_fma_f32 v[6:7], v[12:13], 0.5, v[6:7] op_sel_hi:[1,0,1] neg_lo:[1,0,0] neg_hi:[1,0,0]
	v_pk_mul_f32 v[10:11], v[20:21], s[2:3] op_sel_hi:[1,0]
	global_store_dwordx2 v[28:29], v[2:3], off
	v_pk_add_f32 v[2:3], v[4:5], v[8:9] op_sel:[0,1] op_sel_hi:[1,0]
	v_pk_add_f32 v[4:5], v[4:5], v[8:9] op_sel:[0,1] op_sel_hi:[1,0] neg_lo:[0,1] neg_hi:[0,1]
	v_pk_add_f32 v[8:9], v[6:7], v[10:11] op_sel:[0,1] op_sel_hi:[1,0] neg_lo:[0,1] neg_hi:[0,1]
	v_pk_add_f32 v[6:7], v[6:7], v[10:11] op_sel:[0,1] op_sel_hi:[1,0]
	v_mov_b32_e32 v10, v2
	v_mov_b32_e32 v11, v5
	v_pk_add_f32 v[12:13], v[16:17], v[18:19]
	v_mov_b32_e32 v5, v3
	v_mov_b32_e32 v2, v6
	;; [unrolled: 1-line block ×4, first 2 shown]
	global_store_dwordx2 v[28:29], v[10:11], off offset:432
	global_store_dwordx2 v[28:29], v[4:5], off offset:864
	global_store_dwordx2 v[40:41], v[12:13], off
	global_store_dwordx2 v[42:43], v[2:3], off
	;; [unrolled: 1-line block ×3, first 2 shown]
.LBB0_14:
	s_endpgm
	.section	.rodata,"a",@progbits
	.p2align	6, 0x0
	.amdhsa_kernel fft_rtc_fwd_len162_factors_6_3_3_3_wgs_243_tpt_27_halfLds_sp_op_CI_CI_unitstride_sbrr_dirReg
		.amdhsa_group_segment_fixed_size 0
		.amdhsa_private_segment_fixed_size 0
		.amdhsa_kernarg_size 104
		.amdhsa_user_sgpr_count 2
		.amdhsa_user_sgpr_dispatch_ptr 0
		.amdhsa_user_sgpr_queue_ptr 0
		.amdhsa_user_sgpr_kernarg_segment_ptr 1
		.amdhsa_user_sgpr_dispatch_id 0
		.amdhsa_user_sgpr_kernarg_preload_length 0
		.amdhsa_user_sgpr_kernarg_preload_offset 0
		.amdhsa_user_sgpr_private_segment_size 0
		.amdhsa_uses_dynamic_stack 0
		.amdhsa_enable_private_segment 0
		.amdhsa_system_sgpr_workgroup_id_x 1
		.amdhsa_system_sgpr_workgroup_id_y 0
		.amdhsa_system_sgpr_workgroup_id_z 0
		.amdhsa_system_sgpr_workgroup_info 0
		.amdhsa_system_vgpr_workitem_id 0
		.amdhsa_next_free_vgpr 44
		.amdhsa_next_free_sgpr 28
		.amdhsa_accum_offset 44
		.amdhsa_reserve_vcc 1
		.amdhsa_float_round_mode_32 0
		.amdhsa_float_round_mode_16_64 0
		.amdhsa_float_denorm_mode_32 3
		.amdhsa_float_denorm_mode_16_64 3
		.amdhsa_dx10_clamp 1
		.amdhsa_ieee_mode 1
		.amdhsa_fp16_overflow 0
		.amdhsa_tg_split 0
		.amdhsa_exception_fp_ieee_invalid_op 0
		.amdhsa_exception_fp_denorm_src 0
		.amdhsa_exception_fp_ieee_div_zero 0
		.amdhsa_exception_fp_ieee_overflow 0
		.amdhsa_exception_fp_ieee_underflow 0
		.amdhsa_exception_fp_ieee_inexact 0
		.amdhsa_exception_int_div_zero 0
	.end_amdhsa_kernel
	.text
.Lfunc_end0:
	.size	fft_rtc_fwd_len162_factors_6_3_3_3_wgs_243_tpt_27_halfLds_sp_op_CI_CI_unitstride_sbrr_dirReg, .Lfunc_end0-fft_rtc_fwd_len162_factors_6_3_3_3_wgs_243_tpt_27_halfLds_sp_op_CI_CI_unitstride_sbrr_dirReg
                                        ; -- End function
	.section	.AMDGPU.csdata,"",@progbits
; Kernel info:
; codeLenInByte = 3680
; NumSgprs: 34
; NumVgprs: 44
; NumAgprs: 0
; TotalNumVgprs: 44
; ScratchSize: 0
; MemoryBound: 0
; FloatMode: 240
; IeeeMode: 1
; LDSByteSize: 0 bytes/workgroup (compile time only)
; SGPRBlocks: 4
; VGPRBlocks: 5
; NumSGPRsForWavesPerEU: 34
; NumVGPRsForWavesPerEU: 44
; AccumOffset: 44
; Occupancy: 8
; WaveLimiterHint : 1
; COMPUTE_PGM_RSRC2:SCRATCH_EN: 0
; COMPUTE_PGM_RSRC2:USER_SGPR: 2
; COMPUTE_PGM_RSRC2:TRAP_HANDLER: 0
; COMPUTE_PGM_RSRC2:TGID_X_EN: 1
; COMPUTE_PGM_RSRC2:TGID_Y_EN: 0
; COMPUTE_PGM_RSRC2:TGID_Z_EN: 0
; COMPUTE_PGM_RSRC2:TIDIG_COMP_CNT: 0
; COMPUTE_PGM_RSRC3_GFX90A:ACCUM_OFFSET: 10
; COMPUTE_PGM_RSRC3_GFX90A:TG_SPLIT: 0
	.text
	.p2alignl 6, 3212836864
	.fill 256, 4, 3212836864
	.type	__hip_cuid_d4b3ba95f7396a9d,@object ; @__hip_cuid_d4b3ba95f7396a9d
	.section	.bss,"aw",@nobits
	.globl	__hip_cuid_d4b3ba95f7396a9d
__hip_cuid_d4b3ba95f7396a9d:
	.byte	0                               ; 0x0
	.size	__hip_cuid_d4b3ba95f7396a9d, 1

	.ident	"AMD clang version 19.0.0git (https://github.com/RadeonOpenCompute/llvm-project roc-6.4.0 25133 c7fe45cf4b819c5991fe208aaa96edf142730f1d)"
	.section	".note.GNU-stack","",@progbits
	.addrsig
	.addrsig_sym __hip_cuid_d4b3ba95f7396a9d
	.amdgpu_metadata
---
amdhsa.kernels:
  - .agpr_count:     0
    .args:
      - .actual_access:  read_only
        .address_space:  global
        .offset:         0
        .size:           8
        .value_kind:     global_buffer
      - .offset:         8
        .size:           8
        .value_kind:     by_value
      - .actual_access:  read_only
        .address_space:  global
        .offset:         16
        .size:           8
        .value_kind:     global_buffer
      - .actual_access:  read_only
        .address_space:  global
        .offset:         24
        .size:           8
        .value_kind:     global_buffer
      - .actual_access:  read_only
        .address_space:  global
        .offset:         32
        .size:           8
        .value_kind:     global_buffer
      - .offset:         40
        .size:           8
        .value_kind:     by_value
      - .actual_access:  read_only
        .address_space:  global
        .offset:         48
        .size:           8
        .value_kind:     global_buffer
      - .actual_access:  read_only
        .address_space:  global
        .offset:         56
        .size:           8
        .value_kind:     global_buffer
      - .offset:         64
        .size:           4
        .value_kind:     by_value
      - .actual_access:  read_only
        .address_space:  global
        .offset:         72
        .size:           8
        .value_kind:     global_buffer
      - .actual_access:  read_only
        .address_space:  global
        .offset:         80
        .size:           8
        .value_kind:     global_buffer
      - .actual_access:  read_only
        .address_space:  global
        .offset:         88
        .size:           8
        .value_kind:     global_buffer
      - .actual_access:  write_only
        .address_space:  global
        .offset:         96
        .size:           8
        .value_kind:     global_buffer
    .group_segment_fixed_size: 0
    .kernarg_segment_align: 8
    .kernarg_segment_size: 104
    .language:       OpenCL C
    .language_version:
      - 2
      - 0
    .max_flat_workgroup_size: 243
    .name:           fft_rtc_fwd_len162_factors_6_3_3_3_wgs_243_tpt_27_halfLds_sp_op_CI_CI_unitstride_sbrr_dirReg
    .private_segment_fixed_size: 0
    .sgpr_count:     34
    .sgpr_spill_count: 0
    .symbol:         fft_rtc_fwd_len162_factors_6_3_3_3_wgs_243_tpt_27_halfLds_sp_op_CI_CI_unitstride_sbrr_dirReg.kd
    .uniform_work_group_size: 1
    .uses_dynamic_stack: false
    .vgpr_count:     44
    .vgpr_spill_count: 0
    .wavefront_size: 64
amdhsa.target:   amdgcn-amd-amdhsa--gfx950
amdhsa.version:
  - 1
  - 2
...

	.end_amdgpu_metadata
